;; amdgpu-corpus repo=FlagOpen/FlagGems kind=triton arch=gfx950 opt=O3 lang=triton
	.amdgcn_target "amdgcn-amd-amdhsa--gfx950"
	.amdhsa_code_object_version 5
	.text
	.globl	add_rms_norm_kernel             ; -- Begin function add_rms_norm_kernel
	.p2align	8
	.type	add_rms_norm_kernel,@function
add_rms_norm_kernel:                    ; @add_rms_norm_kernel
.Lfunc_begin0:
	.cfi_sections .debug_frame
	.cfi_startproc
; %bb.31:
	.file	1 "/root/src/amdgpu-assembly/repos/FlagOpen__FlagGems/triton_aot_kernels" "add_rms_norm_aot.py"
	.loc	1 8 0 prologue_end              ; add_rms_norm_aot.py:8:0
	s_load_dwordx2 s[2:3], s[0:1], 0x0
	s_load_dwordx8 s[4:11], s[0:1], 0x8
	s_load_dwordx4 s[12:15], s[0:1], 0x28
	s_waitcnt lgkmcnt(0)
	s_branch .LBB0_0
	.loc	1 0 0 is_stmt 0                 ; :0:0
.Ltmp0:
	.p2align	8
; %bb.32:
.LBB0_0:
.Ltmp1:
	.loc	1 32 21 is_stmt 1               ; add_rms_norm_aot.py:32:21
	s_mul_i32 s20, s12, s16
	s_load_dword s17, s[0:1], 0x38
	.loc	1 32 15 is_stmt 0               ; add_rms_norm_aot.py:32:15
	s_ashr_i32 s21, s20, 31
	s_lshl_b64 s[20:21], s[20:21], 1
	s_mov_b32 s18, s11
.Ltmp2:
	.file	2 "/root/.local/lib/python3.13/site-packages/triton/language" "standard.py"
	.loc	2 293 36 is_stmt 1              ; standard.py:293:36 @[ add_rms_norm_aot.py:43:17 ]
	v_readfirstlane_b32 s11, v0
.Ltmp3:
	.loc	1 32 15                         ; add_rms_norm_aot.py:32:15
	s_add_u32 s26, s4, s20
	s_addc_u32 s27, s5, s21
	.loc	1 35 24                         ; add_rms_norm_aot.py:35:24
	v_and_b32_e32 v9, 63, v0
	s_and_b32 s4, s11, 0x1c0
	v_or_b32_e32 v1, s4, v9
	.loc	1 37 47                         ; add_rms_norm_aot.py:37:47
	v_mov_b32_e32 v3, 0
	.loc	1 35 38                         ; add_rms_norm_aot.py:35:38
	s_waitcnt lgkmcnt(0)
	v_cmp_gt_i32_e64 s[4:5], s17, v1
	v_mov_b32_e32 v2, v3
	.loc	1 37 47                         ; add_rms_norm_aot.py:37:47
	s_and_saveexec_b64 s[20:21], s[4:5]
	s_cbranch_execz .LBB0_2
; %bb.1:
	.loc	1 0 47 is_stmt 0                ; add_rms_norm_aot.py:0:47
	v_mul_lo_u32 v4, v1, s13
	v_ashrrev_i32_e32 v5, 31, v4
	v_lshl_add_u64 v[4:5], v[4:5], 1, s[26:27]
	.loc	1 37 47                         ; add_rms_norm_aot.py:37:47
	global_load_ushort v2, v[4:5], off
.LBB0_2:
	.loc	1 0 47                          ; add_rms_norm_aot.py:0:47
	s_or_b64 exec, exec, s[20:21]
	.loc	1 35 24 is_stmt 1               ; add_rms_norm_aot.py:35:24
	v_or_b32_e32 v8, 0x200, v1
	.loc	1 35 38 is_stmt 0               ; add_rms_norm_aot.py:35:38
	v_cmp_gt_i32_e64 s[20:21], s17, v8
	.loc	1 37 47 is_stmt 1               ; add_rms_norm_aot.py:37:47
	s_and_saveexec_b64 s[22:23], s[20:21]
	s_cbranch_execz .LBB0_4
; %bb.3:
	.loc	1 37 34 is_stmt 0               ; add_rms_norm_aot.py:37:34
	v_mul_lo_u32 v4, v8, s13
	.loc	1 37 27                         ; add_rms_norm_aot.py:37:27
	v_ashrrev_i32_e32 v5, 31, v4
	v_lshl_add_u64 v[4:5], v[4:5], 1, s[26:27]
	.loc	1 37 47                         ; add_rms_norm_aot.py:37:47
	global_load_ushort v3, v[4:5], off
.LBB0_4:
	.loc	1 0 47                          ; add_rms_norm_aot.py:0:47
	s_or_b64 exec, exec, s[22:23]
	.loc	1 35 24 is_stmt 1               ; add_rms_norm_aot.py:35:24
	v_or_b32_e32 v6, 0x400, v1
	.loc	1 37 47                         ; add_rms_norm_aot.py:37:47
	v_mov_b32_e32 v5, 0
	.loc	1 35 38                         ; add_rms_norm_aot.py:35:38
	v_cmp_gt_i32_e64 s[22:23], s17, v6
	v_mov_b32_e32 v4, v5
	.loc	1 37 47                         ; add_rms_norm_aot.py:37:47
	s_and_saveexec_b64 s[24:25], s[22:23]
	s_cbranch_execz .LBB0_6
; %bb.5:
	.loc	1 37 34 is_stmt 0               ; add_rms_norm_aot.py:37:34
	v_mul_lo_u32 v10, v6, s13
	.loc	1 37 27                         ; add_rms_norm_aot.py:37:27
	v_ashrrev_i32_e32 v11, 31, v10
	v_lshl_add_u64 v[10:11], v[10:11], 1, s[26:27]
	.loc	1 37 47                         ; add_rms_norm_aot.py:37:47
	global_load_ushort v4, v[10:11], off
.LBB0_6:
	.loc	1 0 47                          ; add_rms_norm_aot.py:0:47
	s_or_b64 exec, exec, s[24:25]
	.loc	1 35 24 is_stmt 1               ; add_rms_norm_aot.py:35:24
	v_or_b32_e32 v7, 0x600, v1
	.loc	1 35 38 is_stmt 0               ; add_rms_norm_aot.py:35:38
	v_cmp_gt_i32_e64 s[24:25], s17, v7
	.loc	1 37 47 is_stmt 1               ; add_rms_norm_aot.py:37:47
	s_and_saveexec_b64 s[28:29], s[24:25]
	s_cbranch_execz .LBB0_8
; %bb.7:
	.loc	1 37 34 is_stmt 0               ; add_rms_norm_aot.py:37:34
	v_mul_lo_u32 v10, v7, s13
	.loc	1 37 27                         ; add_rms_norm_aot.py:37:27
	v_ashrrev_i32_e32 v11, 31, v10
	v_lshl_add_u64 v[10:11], v[10:11], 1, s[26:27]
	.loc	1 37 47                         ; add_rms_norm_aot.py:37:47
	global_load_ushort v5, v[10:11], off
.LBB0_8:
	.loc	1 0 47                          ; add_rms_norm_aot.py:0:47
	s_or_b64 exec, exec, s[28:29]
	.loc	1 33 21 is_stmt 1               ; add_rms_norm_aot.py:33:21
	s_mul_i32 s12, s14, s16
	.loc	1 33 15 is_stmt 0               ; add_rms_norm_aot.py:33:15
	s_ashr_i32 s13, s12, 31
	s_lshl_b64 s[12:13], s[12:13], 1
	s_add_u32 s6, s6, s12
	.loc	1 38 47 is_stmt 1               ; add_rms_norm_aot.py:38:47
	v_mov_b32_e32 v11, 0
	.loc	1 33 15                         ; add_rms_norm_aot.py:33:15
	s_addc_u32 s7, s7, s13
	v_mov_b32_e32 v10, v11
	.loc	1 38 47                         ; add_rms_norm_aot.py:38:47
	s_and_saveexec_b64 s[12:13], s[4:5]
	s_cbranch_execz .LBB0_10
; %bb.9:
	.loc	1 0 47 is_stmt 0                ; add_rms_norm_aot.py:0:47
	v_mul_lo_u32 v12, v1, s15
	v_ashrrev_i32_e32 v13, 31, v12
	v_lshl_add_u64 v[12:13], v[12:13], 1, s[6:7]
	.loc	1 38 47                         ; add_rms_norm_aot.py:38:47
	global_load_ushort v10, v[12:13], off
.LBB0_10:
	.loc	1 0 47                          ; add_rms_norm_aot.py:0:47
	s_or_b64 exec, exec, s[12:13]
	.loc	1 38 47                         ; add_rms_norm_aot.py:38:47
	s_and_saveexec_b64 s[12:13], s[20:21]
	s_cbranch_execz .LBB0_12
; %bb.11:
	.loc	1 38 34                         ; add_rms_norm_aot.py:38:34
	v_mul_lo_u32 v12, v8, s15
	.loc	1 38 27                         ; add_rms_norm_aot.py:38:27
	v_ashrrev_i32_e32 v13, 31, v12
	v_lshl_add_u64 v[12:13], v[12:13], 1, s[6:7]
	.loc	1 38 47                         ; add_rms_norm_aot.py:38:47
	global_load_ushort v11, v[12:13], off
.LBB0_12:
	.loc	1 0 47                          ; add_rms_norm_aot.py:0:47
	s_or_b64 exec, exec, s[12:13]
	.loc	1 38 47                         ; add_rms_norm_aot.py:38:47
	v_mov_b32_e32 v13, 0
	v_mov_b32_e32 v12, v13
	s_and_saveexec_b64 s[12:13], s[22:23]
	s_cbranch_execz .LBB0_14
; %bb.13:
	.loc	1 38 34                         ; add_rms_norm_aot.py:38:34
	v_mul_lo_u32 v14, v6, s15
	.loc	1 38 27                         ; add_rms_norm_aot.py:38:27
	v_ashrrev_i32_e32 v15, 31, v14
	v_lshl_add_u64 v[14:15], v[14:15], 1, s[6:7]
	.loc	1 38 47                         ; add_rms_norm_aot.py:38:47
	global_load_ushort v12, v[14:15], off
.LBB0_14:
	.loc	1 0 47                          ; add_rms_norm_aot.py:0:47
	s_or_b64 exec, exec, s[12:13]
	.loc	1 38 47                         ; add_rms_norm_aot.py:38:47
	s_and_saveexec_b64 s[12:13], s[24:25]
	s_cbranch_execz .LBB0_16
; %bb.15:
	.loc	1 38 34                         ; add_rms_norm_aot.py:38:34
	v_mul_lo_u32 v14, v7, s15
	.loc	1 38 27                         ; add_rms_norm_aot.py:38:27
	v_ashrrev_i32_e32 v15, 31, v14
	v_lshl_add_u64 v[14:15], v[14:15], 1, s[6:7]
	.loc	1 38 47                         ; add_rms_norm_aot.py:38:47
	global_load_ushort v13, v[14:15], off
.LBB0_16:
	.loc	1 0 47                          ; add_rms_norm_aot.py:0:47
	s_or_b64 exec, exec, s[12:13]
	.loc	1 37 67 is_stmt 1               ; add_rms_norm_aot.py:37:67
	s_waitcnt vmcnt(0)
	v_cvt_f32_f16_e32 v3, v3
	v_cvt_f32_f16_e32 v2, v2
	;; [unrolled: 1-line block ×4, first 2 shown]
	.loc	1 38 67                         ; add_rms_norm_aot.py:38:67
	v_cvt_f32_f16_e32 v5, v11
	v_cvt_f32_f16_e32 v4, v10
	;; [unrolled: 1-line block ×4, first 2 shown]
.Ltmp4:
	.loc	2 293 36                        ; standard.py:293:36 @[ add_rms_norm_aot.py:43:17 ]
	v_cmp_eq_u32_e32 vcc, 0, v9
.Ltmp5:
	.loc	1 41 13                         ; add_rms_norm_aot.py:41:13
	v_pk_add_f32 v[4:5], v[2:3], v[4:5]
	v_pk_add_f32 v[2:3], v[14:15], v[10:11]
	.loc	1 43 21                         ; add_rms_norm_aot.py:43:21
	v_pk_mul_f32 v[10:11], v[4:5], v[4:5]
	v_pk_mul_f32 v[12:13], v[2:3], v[2:3]
.Ltmp6:
	.loc	2 263 15                        ; standard.py:263:15 @[ standard.py:293:36 @[ add_rms_norm_aot.py:43:17 ] ]
	v_add_f32_e32 v10, v10, v11
	v_add_f32_e32 v10, v10, v12
	;; [unrolled: 1-line block ×3, first 2 shown]
	s_nop 1
	v_add_f32_dpp v10, v10, v10 row_shr:8 row_mask:0xf bank_mask:0xf bound_ctrl:1
	s_nop 1
	v_add_f32_dpp v10, v10, v10 row_shr:4 row_mask:0xf bank_mask:0xf bound_ctrl:1
	;; [unrolled: 2-line block ×4, first 2 shown]
.Ltmp7:
	.loc	2 293 36                        ; standard.py:293:36 @[ add_rms_norm_aot.py:43:17 ]
	v_mov_b32_e32 v11, v10
	s_nop 1
	v_mov_b32_dpp v11, v11 row_bcast:15 row_mask:0xa bank_mask:0xf bound_ctrl:1
.Ltmp8:
	.loc	2 263 15                        ; standard.py:263:15 @[ standard.py:293:36 @[ add_rms_norm_aot.py:43:17 ] ]
	v_add_f32_e32 v10, v11, v10
	s_nop 1
	v_add_f32_dpp v10, v10, v10 row_bcast:31 row_mask:0xf bank_mask:0xf bound_ctrl:1
.Ltmp9:
	.loc	2 293 36                        ; standard.py:293:36 @[ add_rms_norm_aot.py:43:17 ]
	s_nop 0
	v_readlane_b32 s12, v10, 63
	s_and_saveexec_b64 s[6:7], vcc
	s_cbranch_execz .LBB0_18
; %bb.17:
	.loc	2 0 36 is_stmt 0                ; standard.py:0:36
	s_lshr_b32 s11, s11, 4
	s_and_b32 s11, s11, 28
	s_add_i32 s11, s11, 0
	.loc	2 293 36                        ; standard.py:293:36 @[ add_rms_norm_aot.py:43:17 ]
	v_mov_b32_e32 v9, s11
	v_mov_b32_e32 v10, s12
	ds_write_b32 v9, v10
.LBB0_18:
	.loc	2 0 36                          ; standard.py:0:36
	s_or_b64 exec, exec, s[6:7]
	.loc	2 293 36                        ; standard.py:293:36 @[ add_rms_norm_aot.py:43:17 ]
	v_cmp_gt_u32_e32 vcc, 8, v0
	v_lshl_add_u32 v9, v0, 2, 0
.Ltmp10:
	.loc	1 43 17 is_stmt 1               ; add_rms_norm_aot.py:43:17
	v_mov_b32_e32 v10, 0
.Ltmp11:
	.loc	2 293 36                        ; standard.py:293:36 @[ add_rms_norm_aot.py:43:17 ]
	s_waitcnt lgkmcnt(0)
	s_barrier
	s_and_saveexec_b64 s[6:7], vcc
; %bb.19:
	ds_read_b32 v10, v9
; %bb.20:
	.loc	2 0 36 is_stmt 0                ; standard.py:0:36
	s_or_b64 exec, exec, s[6:7]
	.loc	2 293 36                        ; standard.py:293:36 @[ add_rms_norm_aot.py:43:17 ]
	s_waitcnt lgkmcnt(0)
	v_mov_b32_e32 v11, v10
	s_load_dword s6, s[0:1], 0x3c
	v_and_b32_e32 v0, 7, v0
	v_mov_b32_dpp v11, v11 row_shr:4 row_mask:0xf bank_mask:0xa
	v_cmp_eq_u32_e64 s[0:1], 0, v0
	s_and_b64 s[12:13], vcc, s[0:1]
	v_mov_b32_dpp v11, v10 row_shl:4 row_mask:0xf bank_mask:0x5
.Ltmp12:
	.loc	2 263 15 is_stmt 1              ; standard.py:263:15 @[ standard.py:293:36 @[ add_rms_norm_aot.py:43:17 ] ]
	v_add_f32_e32 v10, v10, v11
.Ltmp13:
	.loc	2 293 36                        ; standard.py:293:36 @[ add_rms_norm_aot.py:43:17 ]
	v_mov_b32_e32 v11, v10
	s_nop 1
	v_mov_b32_dpp v11, v11 quad_perm:[2,3,0,1] row_mask:0xf bank_mask:0xf
.Ltmp14:
	.loc	2 263 15                        ; standard.py:263:15 @[ standard.py:293:36 @[ add_rms_norm_aot.py:43:17 ] ]
	v_add_f32_e32 v10, v10, v11
.Ltmp15:
	.loc	2 293 36                        ; standard.py:293:36 @[ add_rms_norm_aot.py:43:17 ]
	v_mov_b32_e32 v11, v10
	s_nop 1
	v_mov_b32_dpp v11, v11 quad_perm:[1,0,3,2] row_mask:0xf bank_mask:0xf
	s_and_saveexec_b64 s[0:1], s[12:13]
; %bb.21:
	.loc	2 0 36 is_stmt 0                ; standard.py:0:36
	v_add_f32_e32 v0, v10, v11
	.loc	2 293 36                        ; standard.py:293:36 @[ add_rms_norm_aot.py:43:17 ]
	ds_write_b32 v9, v0
.Ltmp16:
; %bb.22:
	.loc	2 0 36                          ; standard.py:0:36
	s_or_b64 exec, exec, s[0:1]
	.loc	1 31 21 is_stmt 1               ; add_rms_norm_aot.py:31:21
	s_mul_i32 s0, s10, s16
	.loc	1 31 15 is_stmt 0               ; add_rms_norm_aot.py:31:15
	s_ashr_i32 s1, s0, 31
	s_lshl_b64 s[0:1], s[0:1], 1
	s_add_u32 s0, s2, s0
	.loc	1 46 16 is_stmt 1               ; add_rms_norm_aot.py:46:16
	v_bfrev_b32_e32 v9, 1
	v_lshlrev_b32_e32 v10, 1, v8
	.loc	1 31 15                         ; add_rms_norm_aot.py:31:15
	s_addc_u32 s1, s3, s1
	.loc	1 46 16                         ; add_rms_norm_aot.py:46:16
	s_and_b32 s9, s9, 0xffff
	s_mov_b32 s11, 0x27000
	s_mov_b32 s10, 0x7ffffffe
	v_lshlrev_b32_e32 v0, 1, v1
	v_cndmask_b32_e64 v10, v9, v10, s[20:21]
.Ltmp17:
	.loc	2 293 36                        ; standard.py:293:36 @[ add_rms_norm_aot.py:43:17 ]
	s_waitcnt lgkmcnt(0)
	s_barrier
.Ltmp18:
	.loc	1 46 16                         ; add_rms_norm_aot.py:46:16
	v_cndmask_b32_e64 v0, v9, v0, s[4:5]
	buffer_load_ushort v11, v10, s[8:11], 0 offen
	buffer_load_ushort v12, v0, s[8:11], 0 offen
	v_lshlrev_b32_e32 v0, 1, v6
	v_cndmask_b32_e64 v0, v9, v0, s[22:23]
	v_lshlrev_b32_e32 v10, 1, v7
	v_cndmask_b32_e64 v13, v9, v10, s[24:25]
	buffer_load_ushort v9, v0, s[8:11], 0 offen
	buffer_load_ushort v10, v13, s[8:11], 0 offen
.Ltmp19:
	.loc	2 293 36                        ; standard.py:293:36 @[ add_rms_norm_aot.py:43:17 ]
	v_mov_b32_e32 v0, 0
	ds_read_b32 v0, v0
.Ltmp20:
	.loc	1 43 34                         ; add_rms_norm_aot.py:43:34
	v_cvt_f32_i32_e32 v13, s17
	s_waitcnt lgkmcnt(0)
	v_div_scale_f32 v14, s[2:3], v13, v13, v0
	v_rcp_f32_e32 v15, v14
	v_div_scale_f32 v16, vcc, v0, v13, v0
	v_fma_f32 v17, -v14, v15, 1.0
	v_fmac_f32_e32 v15, v17, v15
	v_mul_f32_e32 v17, v16, v15
	v_fma_f32 v18, -v14, v17, v16
	v_fmac_f32_e32 v17, v18, v15
	v_fma_f32 v14, -v14, v17, v16
	v_div_fmas_f32 v14, v14, v15, v17
	v_div_fixup_f32 v0, v14, v13, v0
	.loc	1 44 29                         ; add_rms_norm_aot.py:44:29
	v_add_f32_e32 v0, s6, v0
	.loc	1 44 23 is_stmt 0               ; add_rms_norm_aot.py:44:23
	v_sqrt_f32_e32 v0, v0
	.loc	1 47 20 is_stmt 1               ; add_rms_norm_aot.py:47:20
	s_waitcnt vmcnt(2)
	v_cvt_f32_f16_e32 v12, v12
	.loc	1 44 15                         ; add_rms_norm_aot.py:44:15
	v_div_scale_f32 v13, s[2:3], v0, v0, 1.0
	v_rcp_f32_e32 v14, v13
	v_div_scale_f32 v15, vcc, 1.0, v0, 1.0
	v_fma_f32 v16, -v13, v14, 1.0
	v_fmac_f32_e32 v14, v16, v14
	v_mul_f32_e32 v16, v15, v14
	v_fma_f32 v17, -v13, v16, v15
	v_fmac_f32_e32 v16, v17, v14
	v_fma_f32 v15, -v13, v16, v15
	.loc	1 47 20                         ; add_rms_norm_aot.py:47:20
	v_cvt_f32_f16_e32 v13, v11
	.loc	1 44 15                         ; add_rms_norm_aot.py:44:15
	v_div_fmas_f32 v11, v15, v14, v16
	v_div_fixup_f32 v0, v11, v0, 1.0
	.loc	1 47 13                         ; add_rms_norm_aot.py:47:13
	v_pk_mul_f32 v[4:5], v[4:5], v[0:1] op_sel_hi:[1,0]
	.loc	1 47 20 is_stmt 0               ; add_rms_norm_aot.py:47:20
	s_nop 0
	v_pk_mul_f32 v[4:5], v[4:5], v[12:13]
	.loc	1 48 42 is_stmt 1               ; add_rms_norm_aot.py:48:42
	s_and_saveexec_b64 s[2:3], s[4:5]
	s_cbranch_execz .LBB0_24
; %bb.23:
	.loc	1 0 42 is_stmt 0                ; add_rms_norm_aot.py:0:42
	v_cvt_f16_f32_e32 v4, v4
	v_mul_lo_u32 v12, v1, s18
	v_ashrrev_i32_e32 v13, 31, v12
	v_lshl_add_u64 v[12:13], v[12:13], 1, s[0:1]
	.loc	1 48 42                         ; add_rms_norm_aot.py:48:42
	global_store_short v[12:13], v4, off
.LBB0_24:
	.loc	1 0 42                          ; add_rms_norm_aot.py:0:42
	s_or_b64 exec, exec, s[2:3]
	v_mov_b32_e32 v1, v0
	.loc	1 48 42                         ; add_rms_norm_aot.py:48:42
	s_and_saveexec_b64 s[2:3], s[20:21]
	s_cbranch_execz .LBB0_26
; %bb.25:
	.loc	1 0 42                          ; add_rms_norm_aot.py:0:42
	v_cvt_f16_f32_e32 v11, v5
	.loc	1 48 30                         ; add_rms_norm_aot.py:48:30
	v_mul_lo_u32 v4, v8, s18
	.loc	1 48 23                         ; add_rms_norm_aot.py:48:23
	v_ashrrev_i32_e32 v5, 31, v4
	v_lshl_add_u64 v[4:5], v[4:5], 1, s[0:1]
	.loc	1 48 42                         ; add_rms_norm_aot.py:48:42
	global_store_short v[4:5], v11, off
.LBB0_26:
	.loc	1 0 42                          ; add_rms_norm_aot.py:0:42
	s_or_b64 exec, exec, s[2:3]
	.loc	1 47 20 is_stmt 1               ; add_rms_norm_aot.py:47:20
	s_waitcnt vmcnt(0)
	v_cvt_f32_f16_e32 v5, v10
	v_cvt_f32_f16_e32 v4, v9
	.loc	1 47 13 is_stmt 0               ; add_rms_norm_aot.py:47:13
	v_pk_mul_f32 v[0:1], v[2:3], v[0:1]
	.loc	1 47 20                         ; add_rms_norm_aot.py:47:20
	s_nop 0
	v_pk_mul_f32 v[0:1], v[0:1], v[4:5]
	.loc	1 48 42 is_stmt 1               ; add_rms_norm_aot.py:48:42
	s_and_saveexec_b64 s[2:3], s[22:23]
	s_cbranch_execnz .LBB0_29
; %bb.27:
	.loc	1 0 42 is_stmt 0                ; add_rms_norm_aot.py:0:42
	s_or_b64 exec, exec, s[2:3]
	.loc	1 48 42                         ; add_rms_norm_aot.py:48:42
	s_and_saveexec_b64 s[2:3], s[24:25]
	s_cbranch_execnz .LBB0_30
.LBB0_28:
	.loc	1 48 4                          ; add_rms_norm_aot.py:48:4
	s_endpgm
.LBB0_29:
	.loc	1 0 4                           ; add_rms_norm_aot.py:0:4
	v_cvt_f16_f32_e32 v0, v0
	.loc	1 48 30                         ; add_rms_norm_aot.py:48:30
	v_mul_lo_u32 v2, v6, s18
	.loc	1 48 23                         ; add_rms_norm_aot.py:48:23
	v_ashrrev_i32_e32 v3, 31, v2
	v_lshl_add_u64 v[2:3], v[2:3], 1, s[0:1]
	.loc	1 48 42                         ; add_rms_norm_aot.py:48:42
	global_store_short v[2:3], v0, off
	s_or_b64 exec, exec, s[2:3]
	s_and_saveexec_b64 s[2:3], s[24:25]
	s_cbranch_execz .LBB0_28
.LBB0_30:
	.loc	1 0 42                          ; add_rms_norm_aot.py:0:42
	v_cvt_f16_f32_e32 v2, v1
	.loc	1 48 30                         ; add_rms_norm_aot.py:48:30
	v_mul_lo_u32 v0, v7, s18
	.loc	1 48 23                         ; add_rms_norm_aot.py:48:23
	v_ashrrev_i32_e32 v1, 31, v0
	v_lshl_add_u64 v[0:1], v[0:1], 1, s[0:1]
	.loc	1 48 42                         ; add_rms_norm_aot.py:48:42
	global_store_short v[0:1], v2, off
	.loc	1 48 4                          ; add_rms_norm_aot.py:48:4
	s_endpgm
.Ltmp21:
	.section	.rodata,"a",@progbits
	.p2align	6, 0x0
	.amdhsa_kernel add_rms_norm_kernel
		.amdhsa_group_segment_fixed_size 0
		.amdhsa_private_segment_fixed_size 0
		.amdhsa_kernarg_size 80
		.amdhsa_user_sgpr_count 16
		.amdhsa_user_sgpr_dispatch_ptr 0
		.amdhsa_user_sgpr_queue_ptr 0
		.amdhsa_user_sgpr_kernarg_segment_ptr 1
		.amdhsa_user_sgpr_dispatch_id 0
		.amdhsa_user_sgpr_kernarg_preload_length 14
		.amdhsa_user_sgpr_kernarg_preload_offset 0
		.amdhsa_user_sgpr_private_segment_size 0
		.amdhsa_uses_dynamic_stack 0
		.amdhsa_enable_private_segment 0
		.amdhsa_system_sgpr_workgroup_id_x 1
		.amdhsa_system_sgpr_workgroup_id_y 0
		.amdhsa_system_sgpr_workgroup_id_z 0
		.amdhsa_system_sgpr_workgroup_info 0
		.amdhsa_system_vgpr_workitem_id 0
		.amdhsa_next_free_vgpr 19
		.amdhsa_next_free_sgpr 30
		.amdhsa_accum_offset 20
		.amdhsa_reserve_vcc 1
		.amdhsa_reserve_xnack_mask 1
		.amdhsa_float_round_mode_32 0
		.amdhsa_float_round_mode_16_64 0
		.amdhsa_float_denorm_mode_32 3
		.amdhsa_float_denorm_mode_16_64 3
		.amdhsa_dx10_clamp 1
		.amdhsa_ieee_mode 1
		.amdhsa_fp16_overflow 0
		.amdhsa_tg_split 0
		.amdhsa_exception_fp_ieee_invalid_op 0
		.amdhsa_exception_fp_denorm_src 0
		.amdhsa_exception_fp_ieee_div_zero 0
		.amdhsa_exception_fp_ieee_overflow 0
		.amdhsa_exception_fp_ieee_underflow 0
		.amdhsa_exception_fp_ieee_inexact 0
		.amdhsa_exception_int_div_zero 0
	.end_amdhsa_kernel
	.text
.Lfunc_end0:
	.size	add_rms_norm_kernel, .Lfunc_end0-add_rms_norm_kernel
	.cfi_endproc
                                        ; -- End function
	.set add_rms_norm_kernel.num_vgpr, 19
	.set add_rms_norm_kernel.num_agpr, 0
	.set add_rms_norm_kernel.numbered_sgpr, 30
	.set add_rms_norm_kernel.num_named_barrier, 0
	.set add_rms_norm_kernel.private_seg_size, 0
	.set add_rms_norm_kernel.uses_vcc, 1
	.set add_rms_norm_kernel.uses_flat_scratch, 0
	.set add_rms_norm_kernel.has_dyn_sized_stack, 0
	.set add_rms_norm_kernel.has_recursion, 0
	.set add_rms_norm_kernel.has_indirect_call, 0
	.section	.AMDGPU.csdata,"",@progbits
; Kernel info:
; codeLenInByte = 1672
; TotalNumSgprs: 36
; NumVgprs: 19
; NumAgprs: 0
; TotalNumVgprs: 19
; ScratchSize: 0
; MemoryBound: 0
; FloatMode: 240
; IeeeMode: 1
; LDSByteSize: 0 bytes/workgroup (compile time only)
; SGPRBlocks: 4
; VGPRBlocks: 2
; NumSGPRsForWavesPerEU: 36
; NumVGPRsForWavesPerEU: 19
; AccumOffset: 20
; Occupancy: 8
; WaveLimiterHint : 0
; COMPUTE_PGM_RSRC2:SCRATCH_EN: 0
; COMPUTE_PGM_RSRC2:USER_SGPR: 16
; COMPUTE_PGM_RSRC2:TRAP_HANDLER: 0
; COMPUTE_PGM_RSRC2:TGID_X_EN: 1
; COMPUTE_PGM_RSRC2:TGID_Y_EN: 0
; COMPUTE_PGM_RSRC2:TGID_Z_EN: 0
; COMPUTE_PGM_RSRC2:TIDIG_COMP_CNT: 0
; COMPUTE_PGM_RSRC3_GFX90A:ACCUM_OFFSET: 4
; COMPUTE_PGM_RSRC3_GFX90A:TG_SPLIT: 0
	.text
	.p2alignl 6, 3212836864
	.fill 256, 4, 3212836864
	.section	.AMDGPU.gpr_maximums,"",@progbits
	.set amdgpu.max_num_vgpr, 0
	.set amdgpu.max_num_agpr, 0
	.set amdgpu.max_num_sgpr, 0
	.set amdgpu.max_num_named_barrier, 0
	.text
	.section	.debug_abbrev,"",@progbits
	.byte	1                               ; Abbreviation Code
	.byte	17                              ; DW_TAG_compile_unit
	.byte	1                               ; DW_CHILDREN_yes
	.byte	37                              ; DW_AT_producer
	.byte	14                              ; DW_FORM_strp
	.byte	19                              ; DW_AT_language
	.byte	5                               ; DW_FORM_data2
	.byte	3                               ; DW_AT_name
	.byte	14                              ; DW_FORM_strp
	.byte	16                              ; DW_AT_stmt_list
	.byte	23                              ; DW_FORM_sec_offset
	.byte	27                              ; DW_AT_comp_dir
	.byte	14                              ; DW_FORM_strp
	.byte	17                              ; DW_AT_low_pc
	.byte	1                               ; DW_FORM_addr
	.byte	18                              ; DW_AT_high_pc
	.byte	6                               ; DW_FORM_data4
	.byte	0                               ; EOM(1)
	.byte	0                               ; EOM(2)
	.byte	2                               ; Abbreviation Code
	.byte	46                              ; DW_TAG_subprogram
	.byte	0                               ; DW_CHILDREN_no
	.byte	3                               ; DW_AT_name
	.byte	14                              ; DW_FORM_strp
	.byte	32                              ; DW_AT_inline
	.byte	11                              ; DW_FORM_data1
	.byte	0                               ; EOM(1)
	.byte	0                               ; EOM(2)
	.byte	3                               ; Abbreviation Code
	.byte	46                              ; DW_TAG_subprogram
	.byte	1                               ; DW_CHILDREN_yes
	.byte	17                              ; DW_AT_low_pc
	.byte	1                               ; DW_FORM_addr
	.byte	18                              ; DW_AT_high_pc
	.byte	6                               ; DW_FORM_data4
	.byte	49                              ; DW_AT_abstract_origin
	.byte	19                              ; DW_FORM_ref4
	.byte	0                               ; EOM(1)
	.byte	0                               ; EOM(2)
	.byte	4                               ; Abbreviation Code
	.byte	29                              ; DW_TAG_inlined_subroutine
	.byte	1                               ; DW_CHILDREN_yes
	.byte	49                              ; DW_AT_abstract_origin
	.byte	19                              ; DW_FORM_ref4
	.byte	85                              ; DW_AT_ranges
	.byte	23                              ; DW_FORM_sec_offset
	.byte	88                              ; DW_AT_call_file
	.byte	11                              ; DW_FORM_data1
	.byte	89                              ; DW_AT_call_line
	.byte	11                              ; DW_FORM_data1
	.byte	87                              ; DW_AT_call_column
	.byte	11                              ; DW_FORM_data1
	.byte	0                               ; EOM(1)
	.byte	0                               ; EOM(2)
	.byte	5                               ; Abbreviation Code
	.byte	29                              ; DW_TAG_inlined_subroutine
	.byte	0                               ; DW_CHILDREN_no
	.byte	49                              ; DW_AT_abstract_origin
	.byte	19                              ; DW_FORM_ref4
	.byte	85                              ; DW_AT_ranges
	.byte	23                              ; DW_FORM_sec_offset
	.byte	88                              ; DW_AT_call_file
	.byte	11                              ; DW_FORM_data1
	.byte	89                              ; DW_AT_call_line
	.byte	5                               ; DW_FORM_data2
	.byte	87                              ; DW_AT_call_column
	.byte	11                              ; DW_FORM_data1
	.byte	0                               ; EOM(1)
	.byte	0                               ; EOM(2)
	;; [unrolled: 1-line block ×3, first 2 shown]
	.section	.debug_info,"",@progbits
.Lcu_begin0:
	.long	.Ldebug_info_end0-.Ldebug_info_start0 ; Length of Unit
.Ldebug_info_start0:
	.short	4                               ; DWARF version number
	.long	.debug_abbrev                   ; Offset Into Abbrev. Section
	.byte	8                               ; Address Size (in bytes)
	.byte	1                               ; Abbrev [1] 0xb:0x52 DW_TAG_compile_unit
	.long	.Linfo_string0                  ; DW_AT_producer
	.short	2                               ; DW_AT_language
	.long	.Linfo_string1                  ; DW_AT_name
	.long	.Lline_table_start0             ; DW_AT_stmt_list
	.long	.Linfo_string2                  ; DW_AT_comp_dir
	.quad	.Lfunc_begin0                   ; DW_AT_low_pc
	.long	.Lfunc_end0-.Lfunc_begin0       ; DW_AT_high_pc
	.byte	2                               ; Abbrev [2] 0x2a:0x6 DW_TAG_subprogram
	.long	.Linfo_string3                  ; DW_AT_name
	.byte	1                               ; DW_AT_inline
	.byte	3                               ; Abbrev [3] 0x30:0x2c DW_TAG_subprogram
	.quad	.Lfunc_begin0                   ; DW_AT_low_pc
	.long	.Lfunc_end0-.Lfunc_begin0       ; DW_AT_high_pc
	.long	42                              ; DW_AT_abstract_origin
	.byte	4                               ; Abbrev [4] 0x41:0x1a DW_TAG_inlined_subroutine
	.long	42                              ; DW_AT_abstract_origin
	.long	.Ldebug_ranges0                 ; DW_AT_ranges
	.byte	1                               ; DW_AT_call_file
	.byte	43                              ; DW_AT_call_line
	.byte	17                              ; DW_AT_call_column
	.byte	5                               ; Abbrev [5] 0x4d:0xd DW_TAG_inlined_subroutine
	.long	42                              ; DW_AT_abstract_origin
	.long	.Ldebug_ranges1                 ; DW_AT_ranges
	.byte	2                               ; DW_AT_call_file
	.short	293                             ; DW_AT_call_line
	.byte	36                              ; DW_AT_call_column
	.byte	0                               ; End Of Children Mark
	.byte	0                               ; End Of Children Mark
	;; [unrolled: 1-line block ×3, first 2 shown]
.Ldebug_info_end0:
	.section	.debug_ranges,"",@progbits
.Ldebug_ranges0:
	.quad	.Ltmp2-.Lfunc_begin0
	.quad	.Ltmp3-.Lfunc_begin0
	;; [unrolled: 1-line block ×12, first 2 shown]
	.quad	0
	.quad	0
.Ldebug_ranges1:
	.quad	.Ltmp6-.Lfunc_begin0
	.quad	.Ltmp7-.Lfunc_begin0
	;; [unrolled: 1-line block ×8, first 2 shown]
	.quad	0
	.quad	0
	.section	.debug_str,"MS",@progbits,1
.Linfo_string0:
	.asciz	"triton"                        ; string offset=0
.Linfo_string1:
	.asciz	"add_rms_norm_aot.py"           ; string offset=7
.Linfo_string2:
	.asciz	"/root/src/amdgpu-assembly/repos/FlagOpen__FlagGems/triton_aot_kernels" ; string offset=27
.Linfo_string3:
	.asciz	"add_rms_norm_kernel"           ; string offset=97
	.section	".note.GNU-stack","",@progbits
	.amdgpu_metadata
---
amdhsa.kernels:
  - .agpr_count:     0
    .args:
      - .address_space:  global
        .offset:         0
        .size:           8
        .value_kind:     global_buffer
      - .address_space:  global
        .offset:         8
        .size:           8
        .value_kind:     global_buffer
      - .address_space:  global
        .offset:         16
        .size:           8
        .value_kind:     global_buffer
      - .address_space:  global
        .offset:         24
        .size:           8
        .value_kind:     global_buffer
      - .offset:         32
        .size:           4
        .value_kind:     by_value
      - .offset:         36
        .size:           4
        .value_kind:     by_value
      - .offset:         40
        .size:           4
        .value_kind:     by_value
      - .offset:         44
        .size:           4
        .value_kind:     by_value
      - .offset:         48
        .size:           4
        .value_kind:     by_value
      - .offset:         52
        .size:           4
        .value_kind:     by_value
      - .offset:         56
        .size:           4
        .value_kind:     by_value
      - .offset:         60
        .size:           4
        .value_kind:     by_value
      - .address_space:  global
        .offset:         64
        .size:           8
        .value_kind:     global_buffer
      - .address_space:  global
        .offset:         72
        .size:           8
        .value_kind:     global_buffer
    .group_segment_fixed_size: 0
    .kernarg_segment_align: 8
    .kernarg_segment_size: 80
    .max_flat_workgroup_size: 512
    .name:           add_rms_norm_kernel
    .private_segment_fixed_size: 0
    .sgpr_count:     36
    .sgpr_spill_count: 0
    .symbol:         add_rms_norm_kernel.kd
    .uniform_work_group_size: 1
    .uses_dynamic_stack: false
    .vgpr_count:     19
    .vgpr_spill_count: 0
    .wavefront_size: 64
amdhsa.target:   amdgcn-amd-amdhsa--gfx950
amdhsa.version:
  - 1
  - 2
...

	.end_amdgpu_metadata
	.section	.debug_line,"",@progbits
.Lline_table_start0:
